;; amdgpu-corpus repo=ROCm/rocFFT kind=compiled arch=gfx1030 opt=O3
	.text
	.amdgcn_target "amdgcn-amd-amdhsa--gfx1030"
	.amdhsa_code_object_version 6
	.protected	fft_rtc_back_len2560_factors_4_4_4_10_4_wgs_128_tpt_128_halfLds_sp_ip_CI_unitstride_sbrr_C2R_dirReg ; -- Begin function fft_rtc_back_len2560_factors_4_4_4_10_4_wgs_128_tpt_128_halfLds_sp_ip_CI_unitstride_sbrr_C2R_dirReg
	.globl	fft_rtc_back_len2560_factors_4_4_4_10_4_wgs_128_tpt_128_halfLds_sp_ip_CI_unitstride_sbrr_C2R_dirReg
	.p2align	8
	.type	fft_rtc_back_len2560_factors_4_4_4_10_4_wgs_128_tpt_128_halfLds_sp_ip_CI_unitstride_sbrr_C2R_dirReg,@function
fft_rtc_back_len2560_factors_4_4_4_10_4_wgs_128_tpt_128_halfLds_sp_ip_CI_unitstride_sbrr_C2R_dirReg: ; @fft_rtc_back_len2560_factors_4_4_4_10_4_wgs_128_tpt_128_halfLds_sp_ip_CI_unitstride_sbrr_C2R_dirReg
; %bb.0:
	s_clause 0x2
	s_load_dwordx4 s[8:11], s[4:5], 0x0
	s_load_dwordx2 s[2:3], s[4:5], 0x50
	s_load_dwordx2 s[12:13], s[4:5], 0x18
	v_mov_b32_e32 v3, 0
	v_mov_b32_e32 v1, 0
	v_mov_b32_e32 v5, s6
	v_mov_b32_e32 v2, 0
	v_mov_b32_e32 v6, v3
	s_waitcnt lgkmcnt(0)
	v_cmp_lt_u64_e64 s0, s[10:11], 2
	s_and_b32 vcc_lo, exec_lo, s0
	s_cbranch_vccnz .LBB0_8
; %bb.1:
	s_load_dwordx2 s[0:1], s[4:5], 0x10
	v_mov_b32_e32 v1, 0
	s_add_u32 s6, s12, 8
	v_mov_b32_e32 v2, 0
	s_addc_u32 s7, s13, 0
	s_mov_b64 s[16:17], 1
	s_waitcnt lgkmcnt(0)
	s_add_u32 s14, s0, 8
	s_addc_u32 s15, s1, 0
.LBB0_2:                                ; =>This Inner Loop Header: Depth=1
	s_load_dwordx2 s[18:19], s[14:15], 0x0
                                        ; implicit-def: $vgpr7_vgpr8
	s_mov_b32 s0, exec_lo
	s_waitcnt lgkmcnt(0)
	v_or_b32_e32 v4, s19, v6
	v_cmpx_ne_u64_e32 0, v[3:4]
	s_xor_b32 s1, exec_lo, s0
	s_cbranch_execz .LBB0_4
; %bb.3:                                ;   in Loop: Header=BB0_2 Depth=1
	v_cvt_f32_u32_e32 v4, s18
	v_cvt_f32_u32_e32 v7, s19
	s_sub_u32 s0, 0, s18
	s_subb_u32 s20, 0, s19
	v_fmac_f32_e32 v4, 0x4f800000, v7
	v_rcp_f32_e32 v4, v4
	v_mul_f32_e32 v4, 0x5f7ffffc, v4
	v_mul_f32_e32 v7, 0x2f800000, v4
	v_trunc_f32_e32 v7, v7
	v_fmac_f32_e32 v4, 0xcf800000, v7
	v_cvt_u32_f32_e32 v7, v7
	v_cvt_u32_f32_e32 v4, v4
	v_mul_lo_u32 v8, s0, v7
	v_mul_hi_u32 v9, s0, v4
	v_mul_lo_u32 v10, s20, v4
	v_add_nc_u32_e32 v8, v9, v8
	v_mul_lo_u32 v9, s0, v4
	v_add_nc_u32_e32 v8, v8, v10
	v_mul_hi_u32 v10, v4, v9
	v_mul_lo_u32 v11, v4, v8
	v_mul_hi_u32 v12, v4, v8
	v_mul_hi_u32 v13, v7, v9
	v_mul_lo_u32 v9, v7, v9
	v_mul_hi_u32 v14, v7, v8
	v_mul_lo_u32 v8, v7, v8
	v_add_co_u32 v10, vcc_lo, v10, v11
	v_add_co_ci_u32_e32 v11, vcc_lo, 0, v12, vcc_lo
	v_add_co_u32 v9, vcc_lo, v10, v9
	v_add_co_ci_u32_e32 v9, vcc_lo, v11, v13, vcc_lo
	v_add_co_ci_u32_e32 v10, vcc_lo, 0, v14, vcc_lo
	v_add_co_u32 v8, vcc_lo, v9, v8
	v_add_co_ci_u32_e32 v9, vcc_lo, 0, v10, vcc_lo
	v_add_co_u32 v4, vcc_lo, v4, v8
	v_add_co_ci_u32_e32 v7, vcc_lo, v7, v9, vcc_lo
	v_mul_hi_u32 v8, s0, v4
	v_mul_lo_u32 v10, s20, v4
	v_mul_lo_u32 v9, s0, v7
	v_add_nc_u32_e32 v8, v8, v9
	v_mul_lo_u32 v9, s0, v4
	v_add_nc_u32_e32 v8, v8, v10
	v_mul_hi_u32 v10, v4, v9
	v_mul_lo_u32 v11, v4, v8
	v_mul_hi_u32 v12, v4, v8
	v_mul_hi_u32 v13, v7, v9
	v_mul_lo_u32 v9, v7, v9
	v_mul_hi_u32 v14, v7, v8
	v_mul_lo_u32 v8, v7, v8
	v_add_co_u32 v10, vcc_lo, v10, v11
	v_add_co_ci_u32_e32 v11, vcc_lo, 0, v12, vcc_lo
	v_add_co_u32 v9, vcc_lo, v10, v9
	v_add_co_ci_u32_e32 v9, vcc_lo, v11, v13, vcc_lo
	v_add_co_ci_u32_e32 v10, vcc_lo, 0, v14, vcc_lo
	v_add_co_u32 v8, vcc_lo, v9, v8
	v_add_co_ci_u32_e32 v9, vcc_lo, 0, v10, vcc_lo
	v_add_co_u32 v4, vcc_lo, v4, v8
	v_add_co_ci_u32_e32 v11, vcc_lo, v7, v9, vcc_lo
	v_mul_hi_u32 v13, v5, v4
	v_mad_u64_u32 v[9:10], null, v6, v4, 0
	v_mad_u64_u32 v[7:8], null, v5, v11, 0
	;; [unrolled: 1-line block ×3, first 2 shown]
	v_add_co_u32 v4, vcc_lo, v13, v7
	v_add_co_ci_u32_e32 v7, vcc_lo, 0, v8, vcc_lo
	v_add_co_u32 v4, vcc_lo, v4, v9
	v_add_co_ci_u32_e32 v4, vcc_lo, v7, v10, vcc_lo
	v_add_co_ci_u32_e32 v7, vcc_lo, 0, v12, vcc_lo
	v_add_co_u32 v4, vcc_lo, v4, v11
	v_add_co_ci_u32_e32 v9, vcc_lo, 0, v7, vcc_lo
	v_mul_lo_u32 v10, s19, v4
	v_mad_u64_u32 v[7:8], null, s18, v4, 0
	v_mul_lo_u32 v11, s18, v9
	v_sub_co_u32 v7, vcc_lo, v5, v7
	v_add3_u32 v8, v8, v11, v10
	v_sub_nc_u32_e32 v10, v6, v8
	v_subrev_co_ci_u32_e64 v10, s0, s19, v10, vcc_lo
	v_add_co_u32 v11, s0, v4, 2
	v_add_co_ci_u32_e64 v12, s0, 0, v9, s0
	v_sub_co_u32 v13, s0, v7, s18
	v_sub_co_ci_u32_e32 v8, vcc_lo, v6, v8, vcc_lo
	v_subrev_co_ci_u32_e64 v10, s0, 0, v10, s0
	v_cmp_le_u32_e32 vcc_lo, s18, v13
	v_cmp_eq_u32_e64 s0, s19, v8
	v_cndmask_b32_e64 v13, 0, -1, vcc_lo
	v_cmp_le_u32_e32 vcc_lo, s19, v10
	v_cndmask_b32_e64 v14, 0, -1, vcc_lo
	v_cmp_le_u32_e32 vcc_lo, s18, v7
	;; [unrolled: 2-line block ×3, first 2 shown]
	v_cndmask_b32_e64 v15, 0, -1, vcc_lo
	v_cmp_eq_u32_e32 vcc_lo, s19, v10
	v_cndmask_b32_e64 v7, v15, v7, s0
	v_cndmask_b32_e32 v10, v14, v13, vcc_lo
	v_add_co_u32 v13, vcc_lo, v4, 1
	v_add_co_ci_u32_e32 v14, vcc_lo, 0, v9, vcc_lo
	v_cmp_ne_u32_e32 vcc_lo, 0, v10
	v_cndmask_b32_e32 v8, v14, v12, vcc_lo
	v_cndmask_b32_e32 v10, v13, v11, vcc_lo
	v_cmp_ne_u32_e32 vcc_lo, 0, v7
	v_cndmask_b32_e32 v8, v9, v8, vcc_lo
	v_cndmask_b32_e32 v7, v4, v10, vcc_lo
.LBB0_4:                                ;   in Loop: Header=BB0_2 Depth=1
	s_andn2_saveexec_b32 s0, s1
	s_cbranch_execz .LBB0_6
; %bb.5:                                ;   in Loop: Header=BB0_2 Depth=1
	v_cvt_f32_u32_e32 v4, s18
	s_sub_i32 s1, 0, s18
	v_rcp_iflag_f32_e32 v4, v4
	v_mul_f32_e32 v4, 0x4f7ffffe, v4
	v_cvt_u32_f32_e32 v4, v4
	v_mul_lo_u32 v7, s1, v4
	v_mul_hi_u32 v7, v4, v7
	v_add_nc_u32_e32 v4, v4, v7
	v_mul_hi_u32 v4, v5, v4
	v_mul_lo_u32 v7, v4, s18
	v_add_nc_u32_e32 v8, 1, v4
	v_sub_nc_u32_e32 v7, v5, v7
	v_subrev_nc_u32_e32 v9, s18, v7
	v_cmp_le_u32_e32 vcc_lo, s18, v7
	v_cndmask_b32_e32 v7, v7, v9, vcc_lo
	v_cndmask_b32_e32 v4, v4, v8, vcc_lo
	v_cmp_le_u32_e32 vcc_lo, s18, v7
	v_add_nc_u32_e32 v8, 1, v4
	v_cndmask_b32_e32 v7, v4, v8, vcc_lo
	v_mov_b32_e32 v8, v3
.LBB0_6:                                ;   in Loop: Header=BB0_2 Depth=1
	s_or_b32 exec_lo, exec_lo, s0
	s_load_dwordx2 s[0:1], s[6:7], 0x0
	v_mul_lo_u32 v4, v8, s18
	v_mul_lo_u32 v11, v7, s19
	v_mad_u64_u32 v[9:10], null, v7, s18, 0
	s_add_u32 s16, s16, 1
	s_addc_u32 s17, s17, 0
	s_add_u32 s6, s6, 8
	s_addc_u32 s7, s7, 0
	;; [unrolled: 2-line block ×3, first 2 shown]
	v_add3_u32 v4, v10, v11, v4
	v_sub_co_u32 v5, vcc_lo, v5, v9
	v_sub_co_ci_u32_e32 v4, vcc_lo, v6, v4, vcc_lo
	s_waitcnt lgkmcnt(0)
	v_mul_lo_u32 v6, s1, v5
	v_mul_lo_u32 v4, s0, v4
	v_mad_u64_u32 v[1:2], null, s0, v5, v[1:2]
	v_cmp_ge_u64_e64 s0, s[16:17], s[10:11]
	s_and_b32 vcc_lo, exec_lo, s0
	v_add3_u32 v2, v6, v2, v4
	s_cbranch_vccnz .LBB0_9
; %bb.7:                                ;   in Loop: Header=BB0_2 Depth=1
	v_mov_b32_e32 v5, v7
	v_mov_b32_e32 v6, v8
	s_branch .LBB0_2
.LBB0_8:
	v_mov_b32_e32 v8, v6
	v_mov_b32_e32 v7, v5
.LBB0_9:
	s_lshl_b64 s[0:1], s[10:11], 3
	v_mov_b32_e32 v16, v0
	s_add_u32 s0, s12, s0
	s_addc_u32 s1, s13, s1
	s_load_dwordx2 s[0:1], s[0:1], 0x0
	s_load_dwordx2 s[4:5], s[4:5], 0x20
	s_waitcnt lgkmcnt(0)
	v_mul_lo_u32 v3, s0, v8
	v_mul_lo_u32 v4, s1, v7
	v_mad_u64_u32 v[1:2], null, s0, v7, v[1:2]
	v_cmp_gt_u64_e32 vcc_lo, s[4:5], v[7:8]
	v_add3_u32 v2, v4, v2, v3
	v_lshlrev_b64 v[18:19], 3, v[1:2]
	s_and_saveexec_b32 s1, vcc_lo
	s_cbranch_execz .LBB0_13
; %bb.10:
	v_lshlrev_b32_e32 v17, 3, v0
	v_add_co_u32 v1, s0, s2, v18
	v_add_co_ci_u32_e64 v2, s0, s3, v19, s0
	v_or_b32_e32 v5, 0x800, v17
	v_add_co_u32 v3, s0, v1, v17
	v_or_b32_e32 v7, 0xc00, v17
	v_add_co_ci_u32_e64 v4, s0, 0, v2, s0
	v_add_co_u32 v5, s0, v1, v5
	v_or_b32_e32 v11, 0x1000, v17
	v_add_co_ci_u32_e64 v6, s0, 0, v2, s0
	;; [unrolled: 3-line block ×5, first 2 shown]
	v_add_co_u32 v15, s0, v1, v15
	v_add_co_ci_u32_e64 v16, s0, 0, v2, s0
	v_or_b32_e32 v24, 0x2000, v17
	v_add_co_u32 v20, s0, v1, v48
	v_add_co_ci_u32_e64 v21, s0, 0, v2, s0
	v_or_b32_e32 v25, 0x2400, v17
	s_clause 0x7
	global_load_dwordx2 v[9:10], v[3:4], off
	global_load_dwordx2 v[3:4], v[3:4], off offset:1024
	global_load_dwordx2 v[5:6], v[5:6], off
	global_load_dwordx2 v[7:8], v[7:8], off
	;; [unrolled: 1-line block ×6, first 2 shown]
	v_add_co_u32 v15, s0, v1, v24
	v_or_b32_e32 v26, 0x2800, v17
	v_add_co_ci_u32_e64 v16, s0, 0, v2, s0
	v_add_co_u32 v24, s0, v1, v25
	v_or_b32_e32 v28, 0x2c00, v17
	v_add_co_ci_u32_e64 v25, s0, 0, v2, s0
	v_add_co_u32 v26, s0, v1, v26
	v_add_co_ci_u32_e64 v27, s0, 0, v2, s0
	v_or_b32_e32 v32, 0x3000, v17
	v_add_co_u32 v28, s0, v1, v28
	v_add_co_ci_u32_e64 v29, s0, 0, v2, s0
	v_or_b32_e32 v33, 0x3400, v17
	s_clause 0x3
	global_load_dwordx2 v[30:31], v[15:16], off
	global_load_dwordx2 v[24:25], v[24:25], off
	;; [unrolled: 1-line block ×4, first 2 shown]
	v_add_co_u32 v15, s0, v1, v32
	v_or_b32_e32 v34, 0x3800, v17
	v_add_co_ci_u32_e64 v16, s0, 0, v2, s0
	v_add_co_u32 v32, s0, v1, v33
	v_or_b32_e32 v49, 0x3c00, v17
	v_add_co_ci_u32_e64 v33, s0, 0, v2, s0
	;; [unrolled: 3-line block ×6, first 2 shown]
	v_add_co_u32 v42, s0, v1, v42
	v_add_co_ci_u32_e64 v43, s0, 0, v2, s0
	v_add_co_u32 v44, s0, v1, v44
	v_add_co_ci_u32_e64 v45, s0, 0, v2, s0
	s_clause 0x7
	global_load_dwordx2 v[46:47], v[15:16], off
	global_load_dwordx2 v[32:33], v[32:33], off
	;; [unrolled: 1-line block ×8, first 2 shown]
	v_add_nc_u32_e32 v15, 0, v17
	v_mov_b32_e32 v16, v0
	v_add_nc_u32_e32 v17, 0, v48
	s_mov_b32 s4, exec_lo
	v_add_nc_u32_e32 v48, 0, v49
	s_waitcnt vmcnt(18)
	ds_write2st64_b64 v15, v[9:10], v[3:4] offset1:2
	s_waitcnt vmcnt(16)
	ds_write2st64_b64 v15, v[5:6], v[7:8] offset0:4 offset1:6
	s_waitcnt vmcnt(14)
	ds_write2st64_b64 v15, v[11:12], v[13:14] offset0:8 offset1:10
	s_waitcnt vmcnt(12)
	ds_write_b64 v17, v[20:21]
	s_waitcnt vmcnt(11)
	ds_write2st64_b64 v15, v[22:23], v[30:31] offset0:12 offset1:16
	s_waitcnt vmcnt(9)
	ds_write2st64_b64 v15, v[24:25], v[26:27] offset0:18 offset1:20
	;; [unrolled: 2-line block ×4, first 2 shown]
	s_waitcnt vmcnt(4)
	ds_write_b64 v48, v[36:37]
	s_waitcnt vmcnt(2)
	ds_write2st64_b64 v15, v[38:39], v[40:41] offset0:32 offset1:34
	s_waitcnt vmcnt(0)
	ds_write2st64_b64 v15, v[42:43], v[44:45] offset0:36 offset1:38
	v_cmpx_eq_u32_e32 0x7f, v0
	s_cbranch_execz .LBB0_12
; %bb.11:
	v_add_co_u32 v1, s0, 0x5000, v1
	v_add_co_ci_u32_e64 v2, s0, 0, v2, s0
	v_mov_b32_e32 v3, 0
	v_mov_b32_e32 v16, 0x7f
	global_load_dwordx2 v[1:2], v[1:2], off
	s_waitcnt vmcnt(0)
	ds_write_b64 v3, v[1:2] offset:20480
.LBB0_12:
	s_or_b32 exec_lo, exec_lo, s4
.LBB0_13:
	s_or_b32 exec_lo, exec_lo, s1
	v_lshlrev_b32_e32 v7, 3, v16
	s_waitcnt lgkmcnt(0)
	s_barrier
	buffer_gl0_inv
	v_cmp_ne_u32_e64 s0, 0, v16
	v_add_nc_u32_e32 v22, 0, v7
	v_sub_nc_u32_e32 v6, 0, v7
	s_add_u32 s4, s8, 0x4fe0
	s_addc_u32 s5, s9, 0
                                        ; implicit-def: $vgpr3_vgpr4
	ds_read_b32 v5, v22
	ds_read_b32 v8, v6 offset:20480
	s_waitcnt lgkmcnt(0)
	v_add_f32_e32 v1, v8, v5
	v_sub_f32_e32 v2, v5, v8
	s_and_saveexec_b32 s1, s0
	s_xor_b32 s0, exec_lo, s1
	s_cbranch_execz .LBB0_15
; %bb.14:
	global_load_dwordx2 v[3:4], v7, s[4:5]
	ds_read_b32 v1, v6 offset:20484
	ds_read_b32 v2, v22 offset:4
	v_add_f32_e32 v9, v8, v5
	v_sub_f32_e32 v5, v5, v8
	v_mov_b32_e32 v17, 0
	s_waitcnt lgkmcnt(0)
	v_add_f32_e32 v10, v1, v2
	v_sub_f32_e32 v1, v2, v1
	s_waitcnt vmcnt(0)
	v_fma_f32 v11, v5, v4, v9
	v_fma_f32 v8, -v5, v4, v9
	v_fma_f32 v9, v10, v4, -v1
	v_fma_f32 v2, v10, v4, v1
	v_fma_f32 v1, -v3, v10, v11
	v_fmac_f32_e32 v8, v3, v10
	v_fmac_f32_e32 v9, v5, v3
	;; [unrolled: 1-line block ×3, first 2 shown]
	v_mov_b32_e32 v3, v16
	v_mov_b32_e32 v4, v17
	ds_write_b64 v6, v[8:9] offset:20480
.LBB0_15:
	s_andn2_saveexec_b32 s0, s0
	s_cbranch_execz .LBB0_17
; %bb.16:
	v_mov_b32_e32 v5, 0
	ds_read_b64 v[3:4], v5 offset:10240
	s_waitcnt lgkmcnt(0)
	v_add_f32_e32 v8, v3, v3
	v_mul_f32_e32 v9, -2.0, v4
	v_mov_b32_e32 v3, 0
	v_mov_b32_e32 v4, 0
	ds_write_b64 v5, v[8:9] offset:10240
.LBB0_17:
	s_or_b32 exec_lo, exec_lo, s0
	v_lshlrev_b64 v[3:4], 3, v[3:4]
	v_or_b32_e32 v17, 0x1400, v7
	v_or_b32_e32 v29, 0x2000, v7
	ds_write_b64 v22, v[1:2]
	v_add_co_u32 v3, s0, s4, v3
	v_add_co_ci_u32_e64 v4, s0, s5, v4, s0
	global_load_dwordx2 v[20:21], v17, s[4:5]
	v_or_b32_e32 v17, 0x1800, v7
	global_load_dwordx2 v[8:9], v[3:4], off offset:1024
	v_or_b32_e32 v3, 0x100, v16
	global_load_dwordx2 v[23:24], v17, s[4:5]
	v_lshl_or_b32 v17, v0, 3, 0x1c00
	v_lshlrev_b32_e32 v4, 3, v3
	v_lshl_add_u32 v56, v3, 5, 0
	s_clause 0x1
	global_load_dwordx2 v[25:26], v17, s[4:5]
	global_load_dwordx2 v[10:11], v4, s[4:5]
	v_or_b32_e32 v4, 0x180, v16
	v_lshlrev_b32_e32 v5, 3, v4
	v_lshl_add_u32 v57, v4, 5, 0
	global_load_dwordx2 v[12:13], v5, s[4:5]
	v_or_b32_e32 v5, 0x200, v16
	v_lshlrev_b32_e32 v14, 3, v5
	v_lshl_add_u32 v58, v5, 5, 0
	global_load_dwordx2 v[14:15], v14, s[4:5]
	ds_read_b64 v[1:2], v22 offset:1024
	ds_read_b64 v[27:28], v6 offset:19456
	global_load_dwordx2 v[29:30], v29, s[4:5]
	s_waitcnt lgkmcnt(0)
	v_add_f32_e32 v31, v1, v27
	v_add_f32_e32 v32, v28, v2
	v_sub_f32_e32 v33, v1, v27
	v_sub_f32_e32 v1, v2, v28
	s_waitcnt vmcnt(6)
	v_fma_f32 v34, v33, v9, v31
	v_fma_f32 v2, v32, v9, v1
	v_fma_f32 v27, -v33, v9, v31
	v_fma_f32 v28, v32, v9, -v1
	v_or_b32_e32 v9, 0x2400, v7
	v_fma_f32 v1, -v8, v32, v34
	v_fmac_f32_e32 v2, v33, v8
	v_fmac_f32_e32 v27, v8, v32
	v_fmac_f32_e32 v28, v33, v8
	ds_write_b64 v22, v[1:2] offset:1024
	ds_write_b64 v6, v[27:28] offset:19456
	ds_read_b64 v[1:2], v22 offset:2048
	ds_read_b64 v[7:8], v6 offset:18432
	global_load_dwordx2 v[27:28], v9, s[4:5]
	s_waitcnt lgkmcnt(0)
	v_add_f32_e32 v9, v1, v7
	v_add_f32_e32 v31, v8, v2
	v_sub_f32_e32 v32, v1, v7
	v_sub_f32_e32 v1, v2, v8
	s_waitcnt vmcnt(4)
	v_fma_f32 v33, v32, v11, v9
	v_fma_f32 v2, v31, v11, v1
	v_fma_f32 v7, -v32, v11, v9
	v_fma_f32 v8, v31, v11, -v1
	v_fma_f32 v1, -v10, v31, v33
	v_fmac_f32_e32 v2, v32, v10
	v_fmac_f32_e32 v7, v10, v31
	;; [unrolled: 1-line block ×3, first 2 shown]
	ds_write_b64 v22, v[1:2] offset:2048
	ds_write_b64 v6, v[7:8] offset:18432
	ds_read_b64 v[1:2], v22 offset:3072
	ds_read_b64 v[7:8], v6 offset:17408
	s_waitcnt lgkmcnt(0)
	v_add_f32_e32 v9, v1, v7
	v_add_f32_e32 v10, v8, v2
	v_sub_f32_e32 v11, v1, v7
	v_sub_f32_e32 v1, v2, v8
	s_waitcnt vmcnt(3)
	v_fma_f32 v31, v11, v13, v9
	v_fma_f32 v2, v10, v13, v1
	v_fma_f32 v7, -v11, v13, v9
	v_fma_f32 v8, v10, v13, -v1
	v_fma_f32 v1, -v12, v10, v31
	v_fmac_f32_e32 v2, v11, v12
	v_fmac_f32_e32 v7, v12, v10
	;; [unrolled: 1-line block ×3, first 2 shown]
	ds_write_b64 v22, v[1:2] offset:3072
	ds_write_b64 v6, v[7:8] offset:17408
	ds_read_b64 v[1:2], v22 offset:4096
	ds_read_b64 v[7:8], v6 offset:16384
	s_waitcnt lgkmcnt(0)
	v_add_f32_e32 v9, v1, v7
	v_add_f32_e32 v10, v8, v2
	v_sub_f32_e32 v11, v1, v7
	v_sub_f32_e32 v1, v2, v8
	s_waitcnt vmcnt(2)
	v_fma_f32 v12, v11, v15, v9
	v_fma_f32 v2, v10, v15, v1
	v_fma_f32 v7, -v11, v15, v9
	v_fma_f32 v8, v10, v15, -v1
	v_mad_u32_u24 v15, v16, 24, v22
	v_fma_f32 v1, -v14, v10, v12
	v_fmac_f32_e32 v2, v11, v14
	v_fmac_f32_e32 v7, v14, v10
	;; [unrolled: 1-line block ×3, first 2 shown]
	ds_write_b64 v22, v[1:2] offset:4096
	ds_write_b64 v6, v[7:8] offset:16384
	ds_read_b64 v[1:2], v22 offset:5120
	ds_read_b64 v[7:8], v6 offset:15360
	s_waitcnt lgkmcnt(0)
	v_add_f32_e32 v9, v1, v7
	v_add_f32_e32 v10, v8, v2
	v_sub_f32_e32 v11, v1, v7
	v_sub_f32_e32 v1, v2, v8
	v_fma_f32 v12, v11, v21, v9
	v_fma_f32 v2, v10, v21, v1
	v_fma_f32 v7, -v11, v21, v9
	v_fma_f32 v8, v10, v21, -v1
	v_fma_f32 v1, -v20, v10, v12
	v_fmac_f32_e32 v2, v11, v20
	v_fmac_f32_e32 v7, v20, v10
	;; [unrolled: 1-line block ×3, first 2 shown]
	ds_write_b64 v22, v[1:2] offset:5120
	ds_write_b64 v6, v[7:8] offset:15360
	ds_read_b64 v[1:2], v22 offset:6144
	ds_read_b64 v[7:8], v6 offset:14336
	s_waitcnt lgkmcnt(0)
	v_add_f32_e32 v9, v1, v7
	v_add_f32_e32 v10, v8, v2
	v_sub_f32_e32 v11, v1, v7
	v_sub_f32_e32 v1, v2, v8
	v_fma_f32 v12, v11, v24, v9
	v_fma_f32 v2, v10, v24, v1
	v_fma_f32 v7, -v11, v24, v9
	v_fma_f32 v8, v10, v24, -v1
	v_add_nc_u32_e32 v9, 0, v17
	v_fma_f32 v1, -v23, v10, v12
	v_fmac_f32_e32 v2, v11, v23
	v_fmac_f32_e32 v7, v23, v10
	;; [unrolled: 1-line block ×3, first 2 shown]
	ds_write_b64 v22, v[1:2] offset:6144
	ds_write_b64 v6, v[7:8] offset:14336
	ds_read_b64 v[1:2], v9
	ds_read_b64 v[7:8], v6 offset:13312
	v_or_b32_e32 v17, 0x80, v16
	v_lshl_add_u32 v55, v17, 5, 0
	s_waitcnt lgkmcnt(0)
	v_add_f32_e32 v10, v1, v7
	v_add_f32_e32 v11, v8, v2
	v_sub_f32_e32 v12, v1, v7
	v_sub_f32_e32 v1, v2, v8
	v_fma_f32 v13, v12, v26, v10
	v_fma_f32 v2, v11, v26, v1
	v_fma_f32 v7, -v12, v26, v10
	v_fma_f32 v8, v11, v26, -v1
	v_fma_f32 v1, -v25, v11, v13
	v_fmac_f32_e32 v2, v12, v25
	v_fmac_f32_e32 v7, v25, v11
	;; [unrolled: 1-line block ×3, first 2 shown]
	ds_write_b64 v9, v[1:2]
	ds_write_b64 v6, v[7:8] offset:13312
	ds_read_b64 v[1:2], v22 offset:8192
	ds_read_b64 v[7:8], v6 offset:12288
	s_waitcnt lgkmcnt(0)
	v_add_f32_e32 v9, v1, v7
	v_add_f32_e32 v10, v8, v2
	v_sub_f32_e32 v11, v1, v7
	v_sub_f32_e32 v1, v2, v8
	s_waitcnt vmcnt(1)
	v_fma_f32 v12, v11, v30, v9
	v_fma_f32 v2, v10, v30, v1
	v_fma_f32 v7, -v11, v30, v9
	v_fma_f32 v8, v10, v30, -v1
	v_fma_f32 v1, -v29, v10, v12
	v_fmac_f32_e32 v2, v11, v29
	v_fmac_f32_e32 v7, v29, v10
	;; [unrolled: 1-line block ×3, first 2 shown]
	ds_write_b64 v22, v[1:2] offset:8192
	ds_write_b64 v6, v[7:8] offset:12288
	ds_read_b64 v[1:2], v22 offset:9216
	ds_read_b64 v[7:8], v6 offset:11264
	s_waitcnt lgkmcnt(0)
	v_add_f32_e32 v9, v1, v7
	v_add_f32_e32 v10, v8, v2
	v_sub_f32_e32 v11, v1, v7
	v_sub_f32_e32 v1, v2, v8
	s_waitcnt vmcnt(0)
	v_fma_f32 v12, v11, v28, v9
	v_fma_f32 v2, v10, v28, v1
	v_fma_f32 v7, -v11, v28, v9
	v_fma_f32 v8, v10, v28, -v1
	v_fma_f32 v1, -v27, v10, v12
	v_fmac_f32_e32 v2, v11, v27
	v_fmac_f32_e32 v7, v27, v10
	;; [unrolled: 1-line block ×3, first 2 shown]
	ds_write_b64 v22, v[1:2] offset:9216
	ds_write_b64 v6, v[7:8] offset:11264
	s_waitcnt lgkmcnt(0)
	s_barrier
	buffer_gl0_inv
	s_barrier
	buffer_gl0_inv
	ds_read2st64_b64 v[7:10], v22 offset1:2
	ds_read2st64_b64 v[11:14], v22 offset0:20 offset1:22
	ds_read2st64_b64 v[23:26], v22 offset0:8 offset1:10
	;; [unrolled: 1-line block ×9, first 2 shown]
	v_and_b32_e32 v6, 3, v0
	s_waitcnt lgkmcnt(0)
	s_barrier
	buffer_gl0_inv
	v_mul_u32_u24_e32 v1, 3, v6
	v_lshlrev_b32_e32 v59, 3, v1
	v_sub_f32_e32 v60, v7, v11
	v_sub_f32_e32 v61, v8, v12
	;; [unrolled: 1-line block ×20, first 2 shown]
	v_fma_f32 v45, v7, 2.0, -v60
	v_fma_f32 v46, v8, 2.0, -v61
	;; [unrolled: 1-line block ×8, first 2 shown]
	v_add_f32_e32 v7, v29, v12
	v_sub_f32_e32 v8, v30, v11
	v_fma_f32 v33, v33, 2.0, -v13
	v_fma_f32 v34, v34, 2.0, -v14
	v_fma_f32 v53, v39, 2.0, -v35
	v_fma_f32 v54, v40, 2.0, -v36
	v_add_f32_e32 v9, v35, v14
	v_sub_f32_e32 v10, v36, v13
	v_fma_f32 v62, v41, 2.0, -v37
	v_fma_f32 v63, v42, 2.0, -v38
	v_fma_f32 v39, v47, 2.0, -v20
	v_fma_f32 v40, v48, 2.0, -v21
	;; [unrolled: 6-line block ×3, first 2 shown]
	v_add_f32_e32 v1, v60, v1
	v_sub_f32_e32 v2, v61, v2
	v_sub_f32_e32 v20, v45, v25
	;; [unrolled: 1-line block ×3, first 2 shown]
	v_add_f32_e32 v13, v43, v28
	v_sub_f32_e32 v14, v44, v27
	v_sub_f32_e32 v25, v51, v31
	;; [unrolled: 1-line block ×3, first 2 shown]
	v_fma_f32 v27, v29, 2.0, -v7
	v_fma_f32 v28, v30, 2.0, -v8
	v_sub_f32_e32 v29, v53, v33
	v_sub_f32_e32 v30, v54, v34
	v_fma_f32 v31, v35, 2.0, -v9
	v_fma_f32 v32, v36, 2.0, -v10
	v_sub_f32_e32 v33, v62, v39
	v_sub_f32_e32 v34, v63, v40
	;; [unrolled: 4-line block ×3, first 2 shown]
	v_fma_f32 v23, v60, 2.0, -v1
	v_fma_f32 v24, v61, 2.0, -v2
	;; [unrolled: 1-line block ×14, first 2 shown]
	ds_write2_b64 v15, v[20:21], v[1:2] offset0:2 offset1:3
	ds_write2_b64 v15, v[41:42], v[23:24] offset1:1
	ds_write2_b64 v55, v[43:44], v[27:28] offset1:1
	ds_write2_b64 v55, v[25:26], v[7:8] offset0:2 offset1:3
	ds_write2_b64 v56, v[45:46], v[31:32] offset1:1
	ds_write2_b64 v56, v[29:30], v[9:10] offset0:2 offset1:3
	;; [unrolled: 2-line block ×4, first 2 shown]
	s_waitcnt lgkmcnt(0)
	s_barrier
	buffer_gl0_inv
	s_clause 0x1
	global_load_dwordx4 v[9:12], v59, s[8:9]
	global_load_dwordx2 v[13:14], v59, s[8:9] offset:16
	v_lshlrev_b32_e32 v7, 2, v16
	v_and_b32_e32 v1, 15, v0
	v_lshlrev_b32_e32 v2, 2, v17
	v_lshlrev_b32_e32 v8, 2, v3
	;; [unrolled: 1-line block ×3, first 2 shown]
	v_and_or_b32 v20, 0x1f0, v7, v6
	v_lshlrev_b32_e32 v4, 2, v5
	v_mul_u32_u24_e32 v5, 3, v1
	v_and_or_b32 v21, 0x5f0, v8, v6
	v_and_or_b32 v35, 0x7f0, v3, v6
	v_lshl_add_u32 v59, v20, 3, 0
	v_and_or_b32 v20, 0x3f0, v2, v6
	v_and_or_b32 v6, 0x9f0, v4, v6
	v_add_nc_u32_e32 v15, 0x1800, v22
	ds_read2st64_b64 v[23:26], v22 offset0:8 offset1:10
	ds_read2st64_b64 v[27:30], v22 offset0:22 offset1:24
	ds_read2st64_b64 v[31:34], v22 offset0:14 offset1:16
	v_lshlrev_b32_e32 v60, 3, v5
	v_lshl_add_u32 v61, v20, 3, 0
	v_lshl_add_u32 v62, v21, 3, 0
	v_lshl_add_u32 v63, v35, 3, 0
	v_lshl_add_u32 v64, v6, 3, 0
	ds_read2st64_b64 v[35:38], v22 offset0:18 offset1:20
	ds_read2st64_b64 v[39:42], v22 offset1:2
	ds_read2st64_b64 v[43:46], v22 offset0:30 offset1:32
	ds_read2_b32 v[5:6], v15 offset1:1
	ds_read2st64_b64 v[47:50], v22 offset0:26 offset1:28
	ds_read2st64_b64 v[51:54], v22 offset0:34 offset1:36
	ds_read_b64 v[20:21], v22 offset:19456
	ds_read2st64_b64 v[55:58], v22 offset0:4 offset1:6
	s_waitcnt vmcnt(0) lgkmcnt(0)
	s_barrier
	buffer_gl0_inv
	v_and_or_b32 v4, 0x9c0, v4, v1
	v_lshrrev_b32_e32 v17, 6, v17
	v_mul_f32_e32 v15, v10, v26
	v_mul_f32_e32 v65, v28, v12
	;; [unrolled: 1-line block ×30, first 2 shown]
	v_fmac_f32_e32 v65, v27, v11
	v_fma_f32 v27, v28, v11, -v66
	v_fmac_f32_e32 v67, v29, v11
	v_fma_f32 v28, v30, v11, -v68
	;; [unrolled: 2-line block ×15, first 2 shown]
	v_sub_f32_e32 v26, v39, v73
	v_sub_f32_e32 v31, v40, v31
	;; [unrolled: 1-line block ×20, first 2 shown]
	v_fma_f32 v47, v39, 2.0, -v26
	v_fma_f32 v48, v40, 2.0, -v31
	;; [unrolled: 1-line block ×10, first 2 shown]
	v_add_f32_e32 v5, v26, v6
	v_sub_f32_e32 v6, v31, v14
	v_fma_f32 v40, v80, 2.0, -v20
	v_fma_f32 v41, v12, 2.0, -v9
	v_sub_f32_e32 v10, v35, v20
	v_fma_f32 v42, v69, 2.0, -v21
	v_fma_f32 v55, v29, 2.0, -v27
	v_add_f32_e32 v11, v36, v27
	v_fma_f32 v56, v71, 2.0, -v28
	v_fma_f32 v57, v30, 2.0, -v25
	;; [unrolled: 1-line block ×6, first 2 shown]
	v_add_f32_e32 v9, v34, v9
	v_sub_f32_e32 v12, v37, v21
	v_add_f32_e32 v13, v38, v25
	v_sub_f32_e32 v14, v43, v28
	;; [unrolled: 2-line block ×3, first 2 shown]
	v_sub_f32_e32 v23, v47, v15
	v_sub_f32_e32 v24, v48, v39
	v_fma_f32 v25, v26, 2.0, -v5
	v_fma_f32 v26, v31, 2.0, -v6
	v_sub_f32_e32 v27, v49, v40
	v_sub_f32_e32 v28, v50, v41
	v_fma_f32 v30, v35, 2.0, -v10
	v_sub_f32_e32 v31, v51, v42
	v_sub_f32_e32 v32, v52, v55
	;; [unrolled: 3-line block ×3, first 2 shown]
	v_sub_f32_e32 v39, v58, v66
	v_sub_f32_e32 v40, v65, v67
	v_fma_f32 v29, v34, 2.0, -v9
	v_fma_f32 v34, v37, 2.0, -v12
	;; [unrolled: 1-line block ×16, first 2 shown]
	ds_write2_b64 v59, v[23:24], v[5:6] offset0:8 offset1:12
	ds_write2_b64 v61, v[27:28], v[9:10] offset0:8 offset1:12
	;; [unrolled: 1-line block ×5, first 2 shown]
	ds_write2_b64 v59, v[43:44], v[25:26] offset1:4
	ds_write2_b64 v61, v[45:46], v[29:30] offset1:4
	;; [unrolled: 1-line block ×5, first 2 shown]
	s_waitcnt lgkmcnt(0)
	s_barrier
	buffer_gl0_inv
	s_clause 0x1
	global_load_dwordx4 v[9:12], v60, s[8:9] offset:96
	global_load_dwordx2 v[13:14], v60, s[8:9] offset:112
	v_and_b32_e32 v23, 63, v0
	v_and_or_b32 v0, 0x1c0, v7, v1
	v_and_or_b32 v28, 0x7c0, v3, v1
	v_and_or_b32 v20, 0x3c0, v2, v1
	v_and_or_b32 v21, 0x5c0, v8, v1
	ds_read2st64_b64 v[5:8], v22 offset0:8 offset1:10
	v_lshl_add_u32 v56, v0, 3, 0
	ds_read2st64_b64 v[24:27], v22 offset0:20 offset1:22
	ds_read2st64_b64 v[0:3], v22 offset0:12 offset1:14
	v_lshl_add_u32 v59, v28, 3, 0
	ds_read2st64_b64 v[28:31], v22 offset0:24 offset1:26
	ds_read2st64_b64 v[32:35], v22 offset0:16 offset1:18
	;; [unrolled: 1-line block ×5, first 2 shown]
	ds_read2st64_b64 v[48:51], v22 offset1:2
	ds_read2st64_b64 v[52:55], v22 offset0:4 offset1:6
	v_mul_u32_u24_e32 v15, 9, v23
	v_lshl_add_u32 v58, v21, 3, 0
	v_lshl_add_u32 v60, v4, 3, 0
	s_waitcnt vmcnt(0) lgkmcnt(0)
	s_barrier
	v_lshlrev_b32_e32 v57, 3, v15
	v_lshl_add_u32 v15, v20, 3, 0
	buffer_gl0_inv
	v_mul_f32_e32 v4, v10, v8
	v_mul_f32_e32 v20, v10, v7
	;; [unrolled: 1-line block ×30, first 2 shown]
	v_fmac_f32_e32 v21, v11, v24
	v_fma_f32 v24, v11, v25, -v61
	v_fmac_f32_e32 v64, v11, v26
	v_fma_f32 v25, v11, v27, -v65
	;; [unrolled: 2-line block ×15, first 2 shown]
	v_sub_f32_e32 v13, v48, v21
	v_sub_f32_e32 v14, v49, v24
	;; [unrolled: 1-line block ×20, first 2 shown]
	v_fma_f32 v38, v48, 2.0, -v13
	v_fma_f32 v39, v49, 2.0, -v14
	v_fma_f32 v40, v4, 2.0, -v12
	v_fma_f32 v41, v2, 2.0, -v7
	v_add_f32_e32 v0, v13, v7
	v_fma_f32 v42, v50, 2.0, -v24
	v_fma_f32 v43, v51, 2.0, -v25
	v_fma_f32 v44, v62, 2.0, -v20
	v_fma_f32 v26, v26, 2.0, -v8
	v_add_f32_e32 v2, v24, v8
	;; [unrolled: 5-line block ×3, first 2 shown]
	v_sub_f32_e32 v8, v31, v21
	v_fma_f32 v48, v54, 2.0, -v32
	v_fma_f32 v49, v55, 2.0, -v33
	;; [unrolled: 1-line block ×4, first 2 shown]
	v_add_f32_e32 v9, v32, v10
	v_sub_f32_e32 v10, v33, v34
	v_fma_f32 v52, v5, 2.0, -v36
	v_fma_f32 v6, v6, 2.0, -v37
	;; [unrolled: 1-line block ×4, first 2 shown]
	v_sub_f32_e32 v1, v14, v12
	v_sub_f32_e32 v3, v25, v20
	v_add_f32_e32 v4, v36, v11
	v_sub_f32_e32 v5, v37, v35
	v_sub_f32_e32 v11, v38, v40
	;; [unrolled: 1-line block ×7, first 2 shown]
	v_fma_f32 v28, v30, 2.0, -v7
	v_fma_f32 v29, v31, 2.0, -v8
	v_sub_f32_e32 v30, v48, v50
	v_sub_f32_e32 v31, v49, v51
	;; [unrolled: 1-line block ×4, first 2 shown]
	v_fma_f32 v13, v13, 2.0, -v0
	v_fma_f32 v14, v14, 2.0, -v1
	;; [unrolled: 1-line block ×18, first 2 shown]
	ds_write2_b64 v56, v[11:12], v[0:1] offset0:32 offset1:48
	ds_write2_b64 v15, v[20:21], v[2:3] offset0:32 offset1:48
	;; [unrolled: 1-line block ×5, first 2 shown]
	ds_write2_b64 v56, v[38:39], v[13:14] offset1:16
	ds_write2_b64 v15, v[40:41], v[24:25] offset1:16
	;; [unrolled: 1-line block ×5, first 2 shown]
	s_waitcnt lgkmcnt(0)
	s_barrier
	buffer_gl0_inv
	s_clause 0x4
	global_load_dwordx4 v[12:15], v57, s[8:9] offset:480
	global_load_dwordx4 v[8:11], v57, s[8:9] offset:496
	;; [unrolled: 1-line block ×4, first 2 shown]
	global_load_dwordx2 v[20:21], v57, s[8:9] offset:544
	v_lshrrev_b32_e32 v24, 6, v16
	v_mul_u32_u24_e32 v25, 3, v16
	v_mul_u32_u24_e32 v26, 0x280, v17
	;; [unrolled: 1-line block ×3, first 2 shown]
	v_lshlrev_b32_e32 v27, 3, v25
	v_or_b32_e32 v25, v24, v23
	v_add_co_u32 v17, s0, s8, v27
	v_or_b32_e32 v77, 0x3000, v27
	v_or_b32_e32 v23, v26, v23
	v_lshl_add_u32 v78, v25, 3, 0
	ds_read2st64_b64 v[25:28], v22 offset0:4 offset1:6
	ds_read2st64_b64 v[29:32], v22 offset0:8 offset1:10
	;; [unrolled: 1-line block ×9, first 2 shown]
	ds_read2st64_b64 v[61:64], v22 offset1:2
	v_add_co_ci_u32_e64 v24, null, s9, 0, s0
	v_add_co_u32 v65, s0, 0x1000, v17
	v_lshl_add_u32 v23, v23, 3, 0
	v_add_co_ci_u32_e64 v66, s0, 0, v24, s0
	v_add_co_u32 v67, s0, 0x1800, v17
	v_add_co_ci_u32_e64 v68, s0, 0, v24, s0
	v_add_co_u32 v69, s0, 0x1fe0, v17
	;; [unrolled: 2-line block ×5, first 2 shown]
	v_add_co_ci_u32_e64 v76, s0, 0, v24, s0
	s_waitcnt vmcnt(0) lgkmcnt(0)
	s_barrier
	buffer_gl0_inv
	v_mul_f32_e32 v79, v13, v26
	v_mul_f32_e32 v80, v13, v25
	v_mul_f32_e32 v81, v15, v30
	v_mul_f32_e32 v82, v15, v29
	v_mul_f32_e32 v83, v28, v13
	v_mul_f32_e32 v13, v27, v13
	v_mul_f32_e32 v84, v32, v15
	v_mul_f32_e32 v15, v31, v15
	v_mul_f32_e32 v85, v9, v34
	v_mul_f32_e32 v86, v9, v33
	v_mul_f32_e32 v87, v36, v9
	v_mul_f32_e32 v9, v35, v9
	v_mul_f32_e32 v88, v11, v38
	v_mul_f32_e32 v89, v11, v37
	v_fmac_f32_e32 v79, v12, v25
	v_fma_f32 v25, v12, v26, -v80
	v_fmac_f32_e32 v83, v27, v12
	v_fma_f32 v12, v28, v12, -v13
	v_mul_f32_e32 v13, v40, v11
	v_mul_f32_e32 v11, v39, v11
	;; [unrolled: 1-line block ×4, first 2 shown]
	v_fmac_f32_e32 v81, v14, v29
	v_fma_f32 v28, v14, v30, -v82
	v_fmac_f32_e32 v84, v31, v14
	v_fma_f32 v14, v32, v14, -v15
	v_mul_f32_e32 v15, v46, v7
	v_mul_f32_e32 v29, v45, v7
	;; [unrolled: 1-line block ×7, first 2 shown]
	v_fmac_f32_e32 v85, v8, v33
	v_fma_f32 v33, v8, v34, -v86
	v_fmac_f32_e32 v87, v35, v8
	v_fma_f32 v8, v36, v8, -v9
	v_mul_f32_e32 v9, v48, v7
	v_mul_f32_e32 v7, v47, v7
	v_mul_f32_e32 v35, v57, v21
	v_mul_f32_e32 v30, v50, v1
	v_mul_f32_e32 v34, v58, v21
	v_fmac_f32_e32 v88, v10, v37
	v_fma_f32 v36, v10, v38, -v89
	v_fmac_f32_e32 v13, v39, v10
	v_fma_f32 v10, v40, v10, -v11
	v_mul_f32_e32 v11, v52, v1
	v_mul_f32_e32 v1, v51, v1
	;; [unrolled: 1-line block ×6, first 2 shown]
	v_fmac_f32_e32 v26, v41, v4
	v_fma_f32 v27, v42, v4, -v27
	v_fmac_f32_e32 v32, v43, v4
	v_fma_f32 v4, v44, v4, -v5
	;; [unrolled: 2-line block ×5, first 2 shown]
	v_fma_f32 v7, v50, v0, -v31
	v_fma_f32 v31, v58, v20, -v35
	v_fmac_f32_e32 v30, v49, v0
	v_fmac_f32_e32 v11, v51, v0
	v_fma_f32 v0, v52, v0, -v1
	v_fmac_f32_e32 v37, v55, v2
	v_fma_f32 v1, v56, v2, -v3
	;; [unrolled: 2-line block ×3, first 2 shown]
	v_sub_f32_e32 v21, v88, v81
	v_sub_f32_e32 v35, v15, v80
	;; [unrolled: 1-line block ×4, first 2 shown]
	v_fmac_f32_e32 v34, v57, v20
	v_sub_f32_e32 v3, v81, v88
	v_sub_f32_e32 v20, v80, v15
	v_add_f32_e32 v51, v27, v7
	v_add_f32_e32 v54, v33, v31
	v_sub_f32_e32 v55, v27, v33
	v_sub_f32_e32 v56, v7, v31
	v_add_f32_e32 v21, v21, v35
	v_sub_f32_e32 v35, v87, v32
	v_add_f32_e32 v39, v39, v40
	v_sub_f32_e32 v40, v38, v11
	v_sub_f32_e32 v41, v36, v28
	;; [unrolled: 1-line block ×5, first 2 shown]
	v_add_f32_e32 v50, v25, v33
	v_sub_f32_e32 v57, v84, v13
	v_sub_f32_e32 v58, v37, v9
	;; [unrolled: 1-line block ×4, first 2 shown]
	v_add_f32_e32 v89, v10, v6
	v_add_f32_e32 v90, v14, v1
	v_sub_f32_e32 v92, v10, v14
	v_add_f32_e32 v3, v3, v20
	v_sub_f32_e32 v20, v6, v1
	v_fma_f32 v51, -0.5, v51, v25
	v_fmac_f32_e32 v25, -0.5, v54
	v_sub_f32_e32 v54, v8, v4
	v_add_f32_e32 v55, v55, v56
	v_sub_f32_e32 v56, v2, v0
	v_sub_f32_e32 v48, v26, v85
	;; [unrolled: 1-line block ×5, first 2 shown]
	v_add_f32_e32 v35, v35, v40
	v_add_f32_e32 v40, v61, v81
	;; [unrolled: 1-line block ×4, first 2 shown]
	v_sub_f32_e32 v82, v14, v10
	v_sub_f32_e32 v86, v1, v6
	v_add_f32_e32 v91, v64, v14
	v_add_f32_e32 v41, v41, v42
	v_add_f32_e32 v42, v32, v11
	v_add_f32_e32 v45, v45, v46
	v_add_f32_e32 v46, v87, v38
	v_add_f32_e32 v57, v57, v58
	v_add_f32_e32 v58, v4, v0
	v_add_f32_e32 v59, v59, v60
	v_add_f32_e32 v60, v8, v2
	v_fma_f32 v89, -0.5, v89, v64
	v_fmac_f32_e32 v64, -0.5, v90
	v_sub_f32_e32 v90, v4, v8
	v_add_f32_e32 v20, v92, v20
	v_sub_f32_e32 v92, v0, v2
	v_add_f32_e32 v54, v54, v56
	v_add_f32_e32 v56, v62, v28
	;; [unrolled: 1-line block ×4, first 2 shown]
	v_sub_f32_e32 v49, v32, v87
	v_add_f32_e32 v52, v52, v53
	v_sub_f32_e32 v53, v11, v38
	v_add_f32_e32 v40, v40, v88
	v_fma_f32 v44, -0.5, v44, v79
	v_fmac_f32_e32 v79, -0.5, v47
	v_add_f32_e32 v47, v83, v87
	v_add_f32_e32 v82, v82, v86
	;; [unrolled: 1-line block ×3, first 2 shown]
	v_fma_f32 v42, -0.5, v42, v83
	v_fmac_f32_e32 v83, -0.5, v46
	v_add_f32_e32 v46, v88, v15
	v_fma_f32 v58, -0.5, v58, v12
	v_fmac_f32_e32 v12, -0.5, v60
	v_sub_f32_e32 v60, v36, v5
	v_add_f32_e32 v90, v90, v92
	v_add_f32_e32 v92, v36, v5
	;; [unrolled: 1-line block ×4, first 2 shown]
	v_sub_f32_e32 v53, v88, v15
	v_sub_f32_e32 v88, v26, v30
	v_add_f32_e32 v26, v43, v26
	v_add_f32_e32 v15, v40, v15
	;; [unrolled: 1-line block ×3, first 2 shown]
	v_sub_f32_e32 v43, v27, v7
	v_add_f32_e32 v27, v50, v27
	v_add_f32_e32 v5, v36, v5
	v_sub_f32_e32 v36, v28, v29
	v_fma_f32 v46, -0.5, v46, v61
	v_add_f32_e32 v28, v28, v29
	v_add_f32_e32 v26, v26, v30
	;; [unrolled: 1-line block ×3, first 2 shown]
	v_fma_f32 v40, -0.5, v40, v61
	v_add_f32_e32 v56, v63, v84
	v_sub_f32_e32 v85, v85, v34
	v_add_f32_e32 v7, v27, v7
	v_fmamk_f32 v27, v36, 0xbf737871, v46
	v_fmac_f32_e32 v46, 0x3f737871, v36
	v_fma_f32 v61, -0.5, v92, v62
	v_fma_f32 v28, -0.5, v28, v62
	;; [unrolled: 1-line block ×3, first 2 shown]
	v_fmamk_f32 v30, v60, 0x3f737871, v40
	v_fmac_f32_e32 v40, 0xbf737871, v60
	v_sub_f32_e32 v87, v87, v38
	v_add_f32_e32 v50, v13, v9
	v_add_f32_e32 v56, v56, v13
	;; [unrolled: 1-line block ×3, first 2 shown]
	v_sub_f32_e32 v32, v32, v11
	v_sub_f32_e32 v33, v33, v31
	v_fmac_f32_e32 v27, 0xbf167918, v60
	v_fmac_f32_e32 v46, 0x3f167918, v60
	v_fmamk_f32 v60, v85, 0x3f737871, v51
	v_fmac_f32_e32 v30, 0xbf167918, v36
	v_fmac_f32_e32 v40, 0x3f167918, v36
	v_fmamk_f32 v36, v88, 0xbf737871, v25
	v_fmac_f32_e32 v25, 0x3f737871, v88
	v_sub_f32_e32 v8, v8, v2
	v_fmac_f32_e32 v51, 0xbf737871, v85
	v_add_f32_e32 v7, v7, v31
	v_fmamk_f32 v31, v87, 0x3f737871, v58
	v_sub_f32_e32 v13, v13, v9
	v_add_f32_e32 v91, v91, v10
	v_add_f32_e32 v86, v86, v4
	v_sub_f32_e32 v4, v4, v0
	v_sub_f32_e32 v81, v81, v80
	;; [unrolled: 1-line block ×4, first 2 shown]
	v_fma_f32 v50, -0.5, v50, v63
	v_add_f32_e32 v9, v56, v9
	v_fmamk_f32 v56, v53, 0xbf737871, v28
	v_fmac_f32_e32 v28, 0x3f737871, v53
	v_fmamk_f32 v63, v33, 0xbf737871, v44
	v_add_f32_e32 v15, v15, v80
	v_fmamk_f32 v80, v43, 0x3f737871, v79
	v_fmac_f32_e32 v79, 0xbf737871, v43
	v_add_f32_e32 v26, v26, v34
	v_fmac_f32_e32 v58, 0xbf737871, v87
	v_fmac_f32_e32 v60, 0x3f167918, v88
	v_fmamk_f32 v34, v32, 0xbf737871, v12
	v_fmac_f32_e32 v12, 0x3f737871, v32
	v_fmac_f32_e32 v36, 0x3f167918, v85
	;; [unrolled: 1-line block ×4, first 2 shown]
	v_add_f32_e32 v5, v5, v29
	v_fmamk_f32 v29, v8, 0xbf737871, v42
	v_fmac_f32_e32 v42, 0x3f737871, v8
	v_fmac_f32_e32 v51, 0xbf167918, v88
	;; [unrolled: 1-line block ×3, first 2 shown]
	v_sub_f32_e32 v10, v10, v6
	v_add_f32_e32 v6, v91, v6
	v_add_f32_e32 v11, v47, v11
	;; [unrolled: 1-line block ×3, first 2 shown]
	v_fmamk_f32 v47, v81, 0x3f737871, v61
	v_fmac_f32_e32 v61, 0xbf737871, v81
	v_fmamk_f32 v86, v14, 0xbf737871, v50
	v_fmac_f32_e32 v50, 0x3f737871, v14
	v_fmac_f32_e32 v56, 0x3f167918, v81
	v_fmac_f32_e32 v28, 0xbf167918, v81
	v_fmamk_f32 v81, v84, 0x3f737871, v89
	v_fmac_f32_e32 v89, 0xbf737871, v84
	v_fmac_f32_e32 v63, 0xbf167918, v43
	;; [unrolled: 1-line block ×4, first 2 shown]
	v_fmamk_f32 v33, v4, 0x3f737871, v83
	v_fmac_f32_e32 v83, 0xbf737871, v4
	v_fmac_f32_e32 v58, 0xbf167918, v32
	;; [unrolled: 1-line block ×14, first 2 shown]
	v_fmamk_f32 v53, v10, 0x3f737871, v62
	v_fmac_f32_e32 v62, 0xbf737871, v10
	v_fmamk_f32 v91, v13, 0xbf737871, v64
	v_fmac_f32_e32 v64, 0x3f737871, v13
	v_fmac_f32_e32 v86, 0xbf167918, v10
	;; [unrolled: 1-line block ×3, first 2 shown]
	v_add_f32_e32 v10, v6, v1
	v_fmac_f32_e32 v81, 0x3f167918, v13
	v_fmac_f32_e32 v89, 0xbf167918, v13
	v_add_f32_e32 v6, v11, v38
	v_fmac_f32_e32 v33, 0xbf167918, v8
	v_fmac_f32_e32 v83, 0x3f167918, v8
	;; [unrolled: 1-line block ×6, first 2 shown]
	v_mul_f32_e32 v11, 0xbf167918, v60
	v_mul_f32_e32 v13, 0x3f4f1bbd, v60
	v_add_f32_e32 v8, v0, v2
	v_fmac_f32_e32 v30, 0x3e9e377a, v21
	v_fmac_f32_e32 v40, 0x3e9e377a, v21
	;; [unrolled: 1-line block ×4, first 2 shown]
	v_add_f32_e32 v0, v15, v26
	v_sub_f32_e32 v2, v15, v26
	v_mul_f32_e32 v15, 0xbf737871, v36
	v_mul_f32_e32 v32, 0xbf737871, v25
	;; [unrolled: 1-line block ×4, first 2 shown]
	v_add_f32_e32 v9, v9, v37
	v_fmac_f32_e32 v44, 0x3e9e377a, v45
	v_fmac_f32_e32 v29, 0x3e9e377a, v35
	;; [unrolled: 1-line block ×3, first 2 shown]
	v_mul_f32_e32 v35, 0xbf167918, v51
	v_mul_f32_e32 v37, 0xbf4f1bbd, v51
	;; [unrolled: 1-line block ×3, first 2 shown]
	v_fmac_f32_e32 v53, 0xbf167918, v14
	v_fmac_f32_e32 v62, 0x3f167918, v14
	v_fmac_f32_e32 v91, 0x3f167918, v84
	v_fmac_f32_e32 v64, 0xbf167918, v84
	v_fmac_f32_e32 v27, 0x3e9e377a, v3
	v_fmac_f32_e32 v47, 0x3e9e377a, v39
	v_fmac_f32_e32 v61, 0x3e9e377a, v39
	v_fmac_f32_e32 v56, 0x3e9e377a, v41
	v_fmac_f32_e32 v28, 0x3e9e377a, v41
	v_fmac_f32_e32 v33, 0x3e9e377a, v49
	v_fmac_f32_e32 v83, 0x3e9e377a, v49
	v_mul_f32_e32 v39, 0xbf737871, v34
	v_mul_f32_e32 v43, 0xbf737871, v12
	;; [unrolled: 1-line block ×7, first 2 shown]
	v_fmac_f32_e32 v11, 0x3f4f1bbd, v63
	v_fmac_f32_e32 v13, 0x3f167918, v63
	;; [unrolled: 1-line block ×11, first 2 shown]
	v_add_f32_e32 v1, v5, v7
	v_sub_f32_e32 v3, v5, v7
	v_fmac_f32_e32 v50, 0x3e9e377a, v57
	v_fmac_f32_e32 v53, 0x3e9e377a, v59
	v_fmac_f32_e32 v62, 0x3e9e377a, v59
	v_fmac_f32_e32 v81, 0x3e9e377a, v82
	v_fmac_f32_e32 v89, 0x3e9e377a, v82
	v_fmac_f32_e32 v91, 0x3e9e377a, v20
	v_fmac_f32_e32 v64, 0x3e9e377a, v20
	v_add_f32_e32 v4, v9, v6
	v_add_f32_e32 v5, v10, v8
	v_sub_f32_e32 v6, v9, v6
	v_sub_f32_e32 v7, v10, v8
	v_fmac_f32_e32 v39, 0x3e9e377a, v33
	v_fmac_f32_e32 v43, 0xbe9e377a, v83
	;; [unrolled: 1-line block ×7, first 2 shown]
	v_add_f32_e32 v8, v27, v11
	v_add_f32_e32 v9, v47, v13
	;; [unrolled: 1-line block ×3, first 2 shown]
	v_sub_f32_e32 v12, v27, v11
	v_add_f32_e32 v14, v40, v32
	v_add_f32_e32 v11, v56, v21
	v_sub_f32_e32 v20, v30, v15
	v_add_f32_e32 v15, v28, v36
	v_add_f32_e32 v25, v46, v35
	;; [unrolled: 1-line block ×3, first 2 shown]
	v_sub_f32_e32 v13, v47, v13
	v_sub_f32_e32 v21, v56, v21
	;; [unrolled: 1-line block ×6, first 2 shown]
	v_add_f32_e32 v31, v86, v38
	v_add_f32_e32 v33, v53, v39
	;; [unrolled: 1-line block ×3, first 2 shown]
	v_sub_f32_e32 v35, v86, v38
	v_sub_f32_e32 v36, v81, v41
	v_add_f32_e32 v37, v62, v43
	v_add_f32_e32 v34, v91, v48
	v_sub_f32_e32 v39, v53, v39
	v_sub_f32_e32 v40, v91, v48
	v_add_f32_e32 v41, v50, v45
	v_add_f32_e32 v38, v64, v49
	;; [unrolled: 1-line block ×3, first 2 shown]
	v_sub_f32_e32 v43, v62, v43
	v_sub_f32_e32 v45, v50, v45
	;; [unrolled: 1-line block ×4, first 2 shown]
	ds_write2st64_b64 v78, v[0:1], v[8:9] offset1:1
	ds_write2st64_b64 v78, v[10:11], v[14:15] offset0:2 offset1:3
	ds_write2st64_b64 v78, v[25:26], v[2:3] offset0:4 offset1:5
	;; [unrolled: 1-line block ×4, first 2 shown]
	ds_write2st64_b64 v23, v[4:5], v[31:32] offset1:1
	ds_write2st64_b64 v23, v[33:34], v[37:38] offset0:2 offset1:3
	ds_write2st64_b64 v23, v[41:42], v[6:7] offset0:4 offset1:5
	;; [unrolled: 1-line block ×4, first 2 shown]
	v_add_co_u32 v31, s0, s8, v77
	v_add_co_ci_u32_e64 v32, null, s9, 0, s0
	v_add_co_u32 v27, s0, 0x13e0, v17
	v_add_co_ci_u32_e64 v28, s0, 0, v24, s0
	v_add_co_u32 v25, s0, 0x1000, v31
	v_add_co_ci_u32_e64 v26, s0, 0, v32, s0
	;; [unrolled: 2-line block ×3, first 2 shown]
	s_waitcnt lgkmcnt(0)
	s_barrier
	buffer_gl0_inv
	s_clause 0x8
	global_load_dwordx4 v[0:3], v[65:66], off offset:992
	global_load_dwordx4 v[4:7], v[67:68], off offset:2016
	global_load_dwordx2 v[20:21], v[69:70], off offset:16
	global_load_dwordx2 v[67:68], v[71:72], off offset:16
	global_load_dwordx4 v[8:11], v[73:74], off offset:992
	global_load_dwordx4 v[12:15], v[75:76], off offset:2016
	;; [unrolled: 1-line block ×3, first 2 shown]
	global_load_dwordx2 v[69:70], v[27:28], off offset:16
	global_load_dwordx2 v[71:72], v[29:30], off offset:16
	v_add_co_u32 v27, s0, 0x13e0, v31
	v_add_co_ci_u32_e64 v28, s0, 0, v32, s0
	global_load_dwordx2 v[73:74], v[27:28], off offset:16
	ds_read2st64_b64 v[27:30], v22 offset0:8 offset1:10
	ds_read2st64_b64 v[31:34], v22 offset0:20 offset1:22
	;; [unrolled: 1-line block ×8, first 2 shown]
	ds_read2st64_b64 v[59:62], v22 offset1:2
	ds_read2st64_b64 v[63:66], v22 offset0:4 offset1:6
	s_waitcnt vmcnt(0) lgkmcnt(0)
	s_barrier
	buffer_gl0_inv
	v_mul_f32_e32 v17, v1, v30
	v_mul_f32_e32 v1, v1, v29
	;; [unrolled: 1-line block ×19, first 2 shown]
	v_fmac_f32_e32 v77, v35, v20
	v_fma_f32 v20, v36, v20, -v21
	v_mul_f32_e32 v13, v47, v13
	v_mul_f32_e32 v21, v50, v24
	v_fmac_f32_e32 v79, v37, v67
	v_fma_f32 v35, v38, v67, -v68
	v_mul_f32_e32 v24, v49, v24
	v_mul_f32_e32 v36, v70, v54
	;; [unrolled: 1-line block ×6, first 2 shown]
	v_fmac_f32_e32 v17, v0, v29
	v_fma_f32 v0, v0, v30, -v1
	v_fmac_f32_e32 v75, v2, v31
	v_fma_f32 v1, v2, v32, -v3
	v_mul_f32_e32 v2, v51, v26
	v_mul_f32_e32 v3, v58, v74
	;; [unrolled: 1-line block ×3, first 2 shown]
	v_fmac_f32_e32 v76, v33, v6
	v_fma_f32 v6, v34, v6, -v7
	v_fmac_f32_e32 v78, v4, v39
	v_fma_f32 v4, v4, v40, -v5
	;; [unrolled: 2-line block ×11, first 2 shown]
	v_sub_f32_e32 v14, v59, v75
	v_sub_f32_e32 v15, v60, v1
	;; [unrolled: 1-line block ×20, first 2 shown]
	v_fma_f32 v35, v59, 2.0, -v14
	v_fma_f32 v36, v60, 2.0, -v15
	v_fma_f32 v17, v17, 2.0, -v1
	v_fma_f32 v37, v0, 2.0, -v11
	v_add_f32_e32 v0, v14, v11
	v_sub_f32_e32 v1, v15, v1
	v_fma_f32 v38, v61, 2.0, -v23
	v_fma_f32 v39, v62, 2.0, -v24
	v_fma_f32 v40, v78, 2.0, -v6
	v_fma_f32 v41, v4, 2.0, -v20
	v_add_f32_e32 v2, v23, v20
	v_sub_f32_e32 v3, v24, v6
	;; [unrolled: 6-line block ×5, first 2 shown]
	v_sub_f32_e32 v10, v35, v17
	v_sub_f32_e32 v11, v36, v37
	v_fma_f32 v12, v14, 2.0, -v0
	v_fma_f32 v13, v15, 2.0, -v1
	v_sub_f32_e32 v14, v38, v40
	v_sub_f32_e32 v15, v39, v41
	v_fma_f32 v20, v23, 2.0, -v2
	v_fma_f32 v21, v24, 2.0, -v3
	v_sub_f32_e32 v23, v42, v44
	v_sub_f32_e32 v24, v43, v45
	v_sub_f32_e32 v27, v46, v29
	v_sub_f32_e32 v28, v47, v48
	v_fma_f32 v29, v30, 2.0, -v6
	v_fma_f32 v30, v31, 2.0, -v7
	v_sub_f32_e32 v31, v49, v51
	v_sub_f32_e32 v32, v50, v52
	v_fma_f32 v25, v25, 2.0, -v4
	v_fma_f32 v26, v26, 2.0, -v5
	;; [unrolled: 1-line block ×4, first 2 shown]
	ds_write2st64_b64 v22, v[2:3], v[4:5] offset0:32 offset1:34
	ds_write2st64_b64 v22, v[6:7], v[8:9] offset0:36 offset1:38
	v_fma_f32 v2, v35, 2.0, -v10
	v_fma_f32 v3, v36, 2.0, -v11
	;; [unrolled: 1-line block ×10, first 2 shown]
	ds_write2st64_b64 v22, v[10:11], v[14:15] offset0:20 offset1:22
	ds_write2st64_b64 v22, v[20:21], v[25:26] offset0:12 offset1:14
	;; [unrolled: 1-line block ×5, first 2 shown]
	ds_write2st64_b64 v22, v[2:3], v[4:5] offset1:2
	ds_write2st64_b64 v22, v[6:7], v[8:9] offset0:4 offset1:6
	ds_write2st64_b64 v22, v[35:36], v[12:13] offset0:8 offset1:10
	s_waitcnt lgkmcnt(0)
	s_barrier
	buffer_gl0_inv
	s_and_saveexec_b32 s0, vcc_lo
	s_cbranch_execz .LBB0_19
; %bb.18:
	v_mov_b32_e32 v17, 0
	v_lshl_add_u32 v22, v16, 3, 0
	v_add_nc_u32_e32 v4, 0x80, v16
	v_add_co_u32 v23, vcc_lo, s2, v18
	v_mov_b32_e32 v5, v17
	ds_read2st64_b64 v[0:3], v22 offset1:2
	v_lshlrev_b64 v[8:9], 3, v[16:17]
	v_add_nc_u32_e32 v12, 0x100, v16
	v_mov_b32_e32 v13, v17
	v_lshlrev_b64 v[10:11], 3, v[4:5]
	ds_read2st64_b64 v[4:7], v22 offset0:4 offset1:6
	v_add_co_ci_u32_e32 v24, vcc_lo, s3, v19, vcc_lo
	v_add_co_u32 v8, vcc_lo, v23, v8
	v_lshlrev_b64 v[12:13], 3, v[12:13]
	v_add_co_ci_u32_e32 v9, vcc_lo, v24, v9, vcc_lo
	v_add_co_u32 v10, vcc_lo, v23, v10
	v_add_co_ci_u32_e32 v11, vcc_lo, v24, v11, vcc_lo
	v_add_co_u32 v12, vcc_lo, v23, v12
	v_add_nc_u32_e32 v14, 0x180, v16
	v_mov_b32_e32 v15, v17
	v_add_co_ci_u32_e32 v13, vcc_lo, v24, v13, vcc_lo
	s_waitcnt lgkmcnt(1)
	global_store_dwordx2 v[8:9], v[0:1], off
	global_store_dwordx2 v[10:11], v[2:3], off
	s_waitcnt lgkmcnt(0)
	global_store_dwordx2 v[12:13], v[4:5], off
	v_lshlrev_b64 v[0:1], 3, v[14:15]
	v_add_nc_u32_e32 v8, 0x280, v16
	v_mov_b32_e32 v9, v17
	v_add_nc_u32_e32 v4, 0x200, v16
	v_mov_b32_e32 v5, v17
	v_add_nc_u32_e32 v18, 0x300, v16
	v_add_co_u32 v12, vcc_lo, v23, v0
	v_add_co_ci_u32_e32 v13, vcc_lo, v24, v1, vcc_lo
	ds_read2st64_b64 v[0:3], v22 offset0:8 offset1:10
	v_lshlrev_b64 v[14:15], 3, v[8:9]
	ds_read2st64_b64 v[8:11], v22 offset0:12 offset1:14
	v_lshlrev_b64 v[4:5], 3, v[4:5]
	v_mov_b32_e32 v19, v17
	v_add_nc_u32_e32 v20, 0x380, v16
	v_mov_b32_e32 v21, v17
	v_add_co_u32 v4, vcc_lo, v23, v4
	v_lshlrev_b64 v[18:19], 3, v[18:19]
	v_add_co_ci_u32_e32 v5, vcc_lo, v24, v5, vcc_lo
	v_add_co_u32 v14, vcc_lo, v23, v14
	v_add_co_ci_u32_e32 v15, vcc_lo, v24, v15, vcc_lo
	v_add_co_u32 v18, vcc_lo, v23, v18
	v_add_co_ci_u32_e32 v19, vcc_lo, v24, v19, vcc_lo
	global_store_dwordx2 v[12:13], v[6:7], off
	s_waitcnt lgkmcnt(1)
	global_store_dwordx2 v[4:5], v[0:1], off
	global_store_dwordx2 v[14:15], v[2:3], off
	s_waitcnt lgkmcnt(0)
	global_store_dwordx2 v[18:19], v[8:9], off
	v_lshlrev_b64 v[0:1], 3, v[20:21]
	v_add_nc_u32_e32 v4, 0x400, v16
	v_mov_b32_e32 v5, v17
	v_add_nc_u32_e32 v6, 0x480, v16
	v_mov_b32_e32 v7, v17
	v_add_nc_u32_e32 v18, 0x500, v16
	v_add_co_u32 v8, vcc_lo, v23, v0
	v_add_co_ci_u32_e32 v9, vcc_lo, v24, v1, vcc_lo
	ds_read2st64_b64 v[0:3], v22 offset0:16 offset1:18
	v_lshlrev_b64 v[12:13], 3, v[4:5]
	v_lshlrev_b64 v[14:15], 3, v[6:7]
	ds_read2st64_b64 v[4:7], v22 offset0:20 offset1:22
	v_mov_b32_e32 v19, v17
	v_add_nc_u32_e32 v20, 0x580, v16
	v_add_co_u32 v12, vcc_lo, v23, v12
	v_lshlrev_b64 v[18:19], 3, v[18:19]
	v_add_co_ci_u32_e32 v13, vcc_lo, v24, v13, vcc_lo
	v_add_co_u32 v14, vcc_lo, v23, v14
	v_add_co_ci_u32_e32 v15, vcc_lo, v24, v15, vcc_lo
	v_add_co_u32 v18, vcc_lo, v23, v18
	v_add_co_ci_u32_e32 v19, vcc_lo, v24, v19, vcc_lo
	global_store_dwordx2 v[8:9], v[10:11], off
	s_waitcnt lgkmcnt(1)
	global_store_dwordx2 v[12:13], v[0:1], off
	global_store_dwordx2 v[14:15], v[2:3], off
	s_waitcnt lgkmcnt(0)
	global_store_dwordx2 v[18:19], v[4:5], off
	v_lshlrev_b64 v[0:1], 3, v[20:21]
	v_add_nc_u32_e32 v8, 0x680, v16
	v_mov_b32_e32 v9, v17
	v_add_nc_u32_e32 v4, 0x600, v16
	v_mov_b32_e32 v5, v17
	v_add_nc_u32_e32 v18, 0x700, v16
	v_add_co_u32 v12, vcc_lo, v23, v0
	v_add_co_ci_u32_e32 v13, vcc_lo, v24, v1, vcc_lo
	ds_read2st64_b64 v[0:3], v22 offset0:24 offset1:26
	v_lshlrev_b64 v[14:15], 3, v[8:9]
	ds_read2st64_b64 v[8:11], v22 offset0:28 offset1:30
	v_lshlrev_b64 v[4:5], 3, v[4:5]
	v_mov_b32_e32 v19, v17
	v_add_nc_u32_e32 v20, 0x780, v16
	v_add_co_u32 v4, vcc_lo, v23, v4
	v_lshlrev_b64 v[18:19], 3, v[18:19]
	v_add_co_ci_u32_e32 v5, vcc_lo, v24, v5, vcc_lo
	v_add_co_u32 v14, vcc_lo, v23, v14
	v_add_co_ci_u32_e32 v15, vcc_lo, v24, v15, vcc_lo
	v_add_co_u32 v18, vcc_lo, v23, v18
	v_add_co_ci_u32_e32 v19, vcc_lo, v24, v19, vcc_lo
	global_store_dwordx2 v[12:13], v[6:7], off
	s_waitcnt lgkmcnt(1)
	global_store_dwordx2 v[4:5], v[0:1], off
	global_store_dwordx2 v[14:15], v[2:3], off
	s_waitcnt lgkmcnt(0)
	global_store_dwordx2 v[18:19], v[8:9], off
	v_lshlrev_b64 v[0:1], 3, v[20:21]
	v_add_nc_u32_e32 v4, 0x800, v16
	v_mov_b32_e32 v5, v17
	v_add_nc_u32_e32 v6, 0x880, v16
	v_mov_b32_e32 v7, v17
	v_add_nc_u32_e32 v18, 0x900, v16
	v_add_co_u32 v8, vcc_lo, v23, v0
	v_add_co_ci_u32_e32 v9, vcc_lo, v24, v1, vcc_lo
	ds_read2st64_b64 v[0:3], v22 offset0:32 offset1:34
	v_lshlrev_b64 v[12:13], 3, v[4:5]
	v_lshlrev_b64 v[14:15], 3, v[6:7]
	v_mov_b32_e32 v19, v17
	ds_read2st64_b64 v[4:7], v22 offset0:36 offset1:38
	v_add_nc_u32_e32 v16, 0x980, v16
	v_add_co_u32 v12, vcc_lo, v23, v12
	v_lshlrev_b64 v[18:19], 3, v[18:19]
	v_add_co_ci_u32_e32 v13, vcc_lo, v24, v13, vcc_lo
	v_add_co_u32 v14, vcc_lo, v23, v14
	v_lshlrev_b64 v[16:17], 3, v[16:17]
	v_add_co_ci_u32_e32 v15, vcc_lo, v24, v15, vcc_lo
	v_add_co_u32 v18, vcc_lo, v23, v18
	v_add_co_ci_u32_e32 v19, vcc_lo, v24, v19, vcc_lo
	v_add_co_u32 v16, vcc_lo, v23, v16
	v_add_co_ci_u32_e32 v17, vcc_lo, v24, v17, vcc_lo
	global_store_dwordx2 v[8:9], v[10:11], off
	s_waitcnt lgkmcnt(1)
	global_store_dwordx2 v[12:13], v[0:1], off
	global_store_dwordx2 v[14:15], v[2:3], off
	s_waitcnt lgkmcnt(0)
	global_store_dwordx2 v[18:19], v[4:5], off
	global_store_dwordx2 v[16:17], v[6:7], off
.LBB0_19:
	s_endpgm
	.section	.rodata,"a",@progbits
	.p2align	6, 0x0
	.amdhsa_kernel fft_rtc_back_len2560_factors_4_4_4_10_4_wgs_128_tpt_128_halfLds_sp_ip_CI_unitstride_sbrr_C2R_dirReg
		.amdhsa_group_segment_fixed_size 0
		.amdhsa_private_segment_fixed_size 0
		.amdhsa_kernarg_size 88
		.amdhsa_user_sgpr_count 6
		.amdhsa_user_sgpr_private_segment_buffer 1
		.amdhsa_user_sgpr_dispatch_ptr 0
		.amdhsa_user_sgpr_queue_ptr 0
		.amdhsa_user_sgpr_kernarg_segment_ptr 1
		.amdhsa_user_sgpr_dispatch_id 0
		.amdhsa_user_sgpr_flat_scratch_init 0
		.amdhsa_user_sgpr_private_segment_size 0
		.amdhsa_wavefront_size32 1
		.amdhsa_uses_dynamic_stack 0
		.amdhsa_system_sgpr_private_segment_wavefront_offset 0
		.amdhsa_system_sgpr_workgroup_id_x 1
		.amdhsa_system_sgpr_workgroup_id_y 0
		.amdhsa_system_sgpr_workgroup_id_z 0
		.amdhsa_system_sgpr_workgroup_info 0
		.amdhsa_system_vgpr_workitem_id 0
		.amdhsa_next_free_vgpr 93
		.amdhsa_next_free_sgpr 21
		.amdhsa_reserve_vcc 1
		.amdhsa_reserve_flat_scratch 0
		.amdhsa_float_round_mode_32 0
		.amdhsa_float_round_mode_16_64 0
		.amdhsa_float_denorm_mode_32 3
		.amdhsa_float_denorm_mode_16_64 3
		.amdhsa_dx10_clamp 1
		.amdhsa_ieee_mode 1
		.amdhsa_fp16_overflow 0
		.amdhsa_workgroup_processor_mode 1
		.amdhsa_memory_ordered 1
		.amdhsa_forward_progress 0
		.amdhsa_shared_vgpr_count 0
		.amdhsa_exception_fp_ieee_invalid_op 0
		.amdhsa_exception_fp_denorm_src 0
		.amdhsa_exception_fp_ieee_div_zero 0
		.amdhsa_exception_fp_ieee_overflow 0
		.amdhsa_exception_fp_ieee_underflow 0
		.amdhsa_exception_fp_ieee_inexact 0
		.amdhsa_exception_int_div_zero 0
	.end_amdhsa_kernel
	.text
.Lfunc_end0:
	.size	fft_rtc_back_len2560_factors_4_4_4_10_4_wgs_128_tpt_128_halfLds_sp_ip_CI_unitstride_sbrr_C2R_dirReg, .Lfunc_end0-fft_rtc_back_len2560_factors_4_4_4_10_4_wgs_128_tpt_128_halfLds_sp_ip_CI_unitstride_sbrr_C2R_dirReg
                                        ; -- End function
	.section	.AMDGPU.csdata,"",@progbits
; Kernel info:
; codeLenInByte = 11016
; NumSgprs: 23
; NumVgprs: 93
; ScratchSize: 0
; MemoryBound: 0
; FloatMode: 240
; IeeeMode: 1
; LDSByteSize: 0 bytes/workgroup (compile time only)
; SGPRBlocks: 2
; VGPRBlocks: 11
; NumSGPRsForWavesPerEU: 23
; NumVGPRsForWavesPerEU: 93
; Occupancy: 10
; WaveLimiterHint : 1
; COMPUTE_PGM_RSRC2:SCRATCH_EN: 0
; COMPUTE_PGM_RSRC2:USER_SGPR: 6
; COMPUTE_PGM_RSRC2:TRAP_HANDLER: 0
; COMPUTE_PGM_RSRC2:TGID_X_EN: 1
; COMPUTE_PGM_RSRC2:TGID_Y_EN: 0
; COMPUTE_PGM_RSRC2:TGID_Z_EN: 0
; COMPUTE_PGM_RSRC2:TIDIG_COMP_CNT: 0
	.text
	.p2alignl 6, 3214868480
	.fill 48, 4, 3214868480
	.type	__hip_cuid_502e4855316ca004,@object ; @__hip_cuid_502e4855316ca004
	.section	.bss,"aw",@nobits
	.globl	__hip_cuid_502e4855316ca004
__hip_cuid_502e4855316ca004:
	.byte	0                               ; 0x0
	.size	__hip_cuid_502e4855316ca004, 1

	.ident	"AMD clang version 19.0.0git (https://github.com/RadeonOpenCompute/llvm-project roc-6.4.0 25133 c7fe45cf4b819c5991fe208aaa96edf142730f1d)"
	.section	".note.GNU-stack","",@progbits
	.addrsig
	.addrsig_sym __hip_cuid_502e4855316ca004
	.amdgpu_metadata
---
amdhsa.kernels:
  - .args:
      - .actual_access:  read_only
        .address_space:  global
        .offset:         0
        .size:           8
        .value_kind:     global_buffer
      - .offset:         8
        .size:           8
        .value_kind:     by_value
      - .actual_access:  read_only
        .address_space:  global
        .offset:         16
        .size:           8
        .value_kind:     global_buffer
      - .actual_access:  read_only
        .address_space:  global
        .offset:         24
        .size:           8
        .value_kind:     global_buffer
      - .offset:         32
        .size:           8
        .value_kind:     by_value
      - .actual_access:  read_only
        .address_space:  global
        .offset:         40
        .size:           8
        .value_kind:     global_buffer
      - .actual_access:  read_only
        .address_space:  global
        .offset:         48
        .size:           8
        .value_kind:     global_buffer
      - .offset:         56
        .size:           4
        .value_kind:     by_value
      - .actual_access:  read_only
        .address_space:  global
        .offset:         64
        .size:           8
        .value_kind:     global_buffer
      - .actual_access:  read_only
        .address_space:  global
        .offset:         72
        .size:           8
        .value_kind:     global_buffer
      - .address_space:  global
        .offset:         80
        .size:           8
        .value_kind:     global_buffer
    .group_segment_fixed_size: 0
    .kernarg_segment_align: 8
    .kernarg_segment_size: 88
    .language:       OpenCL C
    .language_version:
      - 2
      - 0
    .max_flat_workgroup_size: 128
    .name:           fft_rtc_back_len2560_factors_4_4_4_10_4_wgs_128_tpt_128_halfLds_sp_ip_CI_unitstride_sbrr_C2R_dirReg
    .private_segment_fixed_size: 0
    .sgpr_count:     23
    .sgpr_spill_count: 0
    .symbol:         fft_rtc_back_len2560_factors_4_4_4_10_4_wgs_128_tpt_128_halfLds_sp_ip_CI_unitstride_sbrr_C2R_dirReg.kd
    .uniform_work_group_size: 1
    .uses_dynamic_stack: false
    .vgpr_count:     93
    .vgpr_spill_count: 0
    .wavefront_size: 32
    .workgroup_processor_mode: 1
amdhsa.target:   amdgcn-amd-amdhsa--gfx1030
amdhsa.version:
  - 1
  - 2
...

	.end_amdgpu_metadata
